;; amdgpu-corpus repo=zjin-lcf/HeCBench kind=compiled arch=gfx906 opt=O3
	.amdgcn_target "amdgcn-amd-amdhsa--gfx906"
	.amdhsa_code_object_version 6
	.section	.text._Z10matrix_mulI6__halfEvPT_S2_S2_iiiS1_S1_,"axG",@progbits,_Z10matrix_mulI6__halfEvPT_S2_S2_iiiS1_S1_,comdat
	.protected	_Z10matrix_mulI6__halfEvPT_S2_S2_iiiS1_S1_ ; -- Begin function _Z10matrix_mulI6__halfEvPT_S2_S2_iiiS1_S1_
	.globl	_Z10matrix_mulI6__halfEvPT_S2_S2_iiiS1_S1_
	.p2align	8
	.type	_Z10matrix_mulI6__halfEvPT_S2_S2_iiiS1_S1_,@function
_Z10matrix_mulI6__halfEvPT_S2_S2_iiiS1_S1_: ; @_Z10matrix_mulI6__halfEvPT_S2_S2_iiiS1_S1_
; %bb.0:
	s_load_dwordx4 s[8:11], s[4:5], 0x18
	v_lshl_add_u32 v5, s7, 4, v1
	v_lshl_add_u32 v0, s6, 4, v0
	s_waitcnt lgkmcnt(0)
	v_cmp_gt_i32_e32 vcc, s8, v5
	v_cmp_gt_i32_e64 s[0:1], s10, v0
	s_and_b64 s[0:1], vcc, s[0:1]
	s_and_saveexec_b64 s[2:3], s[0:1]
	s_cbranch_execz .LBB0_5
; %bb.1:
	v_mov_b32_e32 v7, 0
	global_load_dword v6, v7, s[4:5] offset:36
	s_load_dwordx4 s[0:3], s[4:5], 0x0
	s_load_dwordx2 s[6:7], s[4:5], 0x10
	s_cmp_lt_i32 s9, 1
	s_cbranch_scc1 .LBB0_4
; %bb.2:
	v_mul_lo_u32 v1, s9, v5
	s_waitcnt lgkmcnt(0)
	v_mov_b32_e32 v3, s1
	v_mov_b32_e32 v7, 0
	;; [unrolled: 1-line block ×3, first 2 shown]
	v_ashrrev_i32_e32 v2, 31, v1
	v_lshlrev_b64 v[1:2], 1, v[1:2]
	v_add_co_u32_e32 v1, vcc, s0, v1
	v_addc_co_u32_e32 v2, vcc, v3, v2, vcc
	v_mov_b32_e32 v3, v0
.LBB0_3:                                ; =>This Inner Loop Header: Depth=1
	v_ashrrev_i32_e32 v4, 31, v3
	v_lshlrev_b64 v[9:10], 1, v[3:4]
	global_load_ushort v11, v[1:2], off
	v_add_co_u32_e32 v9, vcc, s2, v9
	v_addc_co_u32_e32 v10, vcc, v8, v10, vcc
	global_load_ushort v4, v[9:10], off
	s_add_i32 s9, s9, -1
	v_add_co_u32_e32 v1, vcc, 2, v1
	v_addc_co_u32_e32 v2, vcc, 0, v2, vcc
	v_add_u32_e32 v3, s10, v3
	s_cmp_eq_u32 s9, 0
	s_waitcnt vmcnt(0)
	v_fma_f16 v7, v11, v4, v7
	s_cbranch_scc0 .LBB0_3
.LBB0_4:
	s_waitcnt lgkmcnt(0)
	v_mad_u64_u32 v[0:1], s[0:1], s10, v5, v[0:1]
	v_mov_b32_e32 v2, s7
	v_ashrrev_i32_e32 v1, 31, v0
	v_lshlrev_b64 v[0:1], 1, v[0:1]
	v_add_co_u32_e32 v0, vcc, s6, v0
	v_addc_co_u32_e32 v1, vcc, v2, v1, vcc
	global_load_ushort v2, v[0:1], off
	s_waitcnt vmcnt(0)
	v_mul_f16_sdwa v2, v6, v2 dst_sel:DWORD dst_unused:UNUSED_PAD src0_sel:WORD_1 src1_sel:DWORD
	v_fma_f16 v2, v6, v7, v2
	global_store_short v[0:1], v2, off
.LBB0_5:
	s_endpgm
	.section	.rodata,"a",@progbits
	.p2align	6, 0x0
	.amdhsa_kernel _Z10matrix_mulI6__halfEvPT_S2_S2_iiiS1_S1_
		.amdhsa_group_segment_fixed_size 0
		.amdhsa_private_segment_fixed_size 0
		.amdhsa_kernarg_size 40
		.amdhsa_user_sgpr_count 6
		.amdhsa_user_sgpr_private_segment_buffer 1
		.amdhsa_user_sgpr_dispatch_ptr 0
		.amdhsa_user_sgpr_queue_ptr 0
		.amdhsa_user_sgpr_kernarg_segment_ptr 1
		.amdhsa_user_sgpr_dispatch_id 0
		.amdhsa_user_sgpr_flat_scratch_init 0
		.amdhsa_user_sgpr_private_segment_size 0
		.amdhsa_uses_dynamic_stack 0
		.amdhsa_system_sgpr_private_segment_wavefront_offset 0
		.amdhsa_system_sgpr_workgroup_id_x 1
		.amdhsa_system_sgpr_workgroup_id_y 1
		.amdhsa_system_sgpr_workgroup_id_z 0
		.amdhsa_system_sgpr_workgroup_info 0
		.amdhsa_system_vgpr_workitem_id 1
		.amdhsa_next_free_vgpr 12
		.amdhsa_next_free_sgpr 12
		.amdhsa_reserve_vcc 1
		.amdhsa_reserve_flat_scratch 0
		.amdhsa_float_round_mode_32 0
		.amdhsa_float_round_mode_16_64 0
		.amdhsa_float_denorm_mode_32 3
		.amdhsa_float_denorm_mode_16_64 3
		.amdhsa_dx10_clamp 1
		.amdhsa_ieee_mode 1
		.amdhsa_fp16_overflow 0
		.amdhsa_exception_fp_ieee_invalid_op 0
		.amdhsa_exception_fp_denorm_src 0
		.amdhsa_exception_fp_ieee_div_zero 0
		.amdhsa_exception_fp_ieee_overflow 0
		.amdhsa_exception_fp_ieee_underflow 0
		.amdhsa_exception_fp_ieee_inexact 0
		.amdhsa_exception_int_div_zero 0
	.end_amdhsa_kernel
	.section	.text._Z10matrix_mulI6__halfEvPT_S2_S2_iiiS1_S1_,"axG",@progbits,_Z10matrix_mulI6__halfEvPT_S2_S2_iiiS1_S1_,comdat
.Lfunc_end0:
	.size	_Z10matrix_mulI6__halfEvPT_S2_S2_iiiS1_S1_, .Lfunc_end0-_Z10matrix_mulI6__halfEvPT_S2_S2_iiiS1_S1_
                                        ; -- End function
	.set _Z10matrix_mulI6__halfEvPT_S2_S2_iiiS1_S1_.num_vgpr, 12
	.set _Z10matrix_mulI6__halfEvPT_S2_S2_iiiS1_S1_.num_agpr, 0
	.set _Z10matrix_mulI6__halfEvPT_S2_S2_iiiS1_S1_.numbered_sgpr, 12
	.set _Z10matrix_mulI6__halfEvPT_S2_S2_iiiS1_S1_.num_named_barrier, 0
	.set _Z10matrix_mulI6__halfEvPT_S2_S2_iiiS1_S1_.private_seg_size, 0
	.set _Z10matrix_mulI6__halfEvPT_S2_S2_iiiS1_S1_.uses_vcc, 1
	.set _Z10matrix_mulI6__halfEvPT_S2_S2_iiiS1_S1_.uses_flat_scratch, 0
	.set _Z10matrix_mulI6__halfEvPT_S2_S2_iiiS1_S1_.has_dyn_sized_stack, 0
	.set _Z10matrix_mulI6__halfEvPT_S2_S2_iiiS1_S1_.has_recursion, 0
	.set _Z10matrix_mulI6__halfEvPT_S2_S2_iiiS1_S1_.has_indirect_call, 0
	.section	.AMDGPU.csdata,"",@progbits
; Kernel info:
; codeLenInByte = 284
; TotalNumSgprs: 16
; NumVgprs: 12
; ScratchSize: 0
; MemoryBound: 0
; FloatMode: 240
; IeeeMode: 1
; LDSByteSize: 0 bytes/workgroup (compile time only)
; SGPRBlocks: 1
; VGPRBlocks: 2
; NumSGPRsForWavesPerEU: 16
; NumVGPRsForWavesPerEU: 12
; Occupancy: 10
; WaveLimiterHint : 0
; COMPUTE_PGM_RSRC2:SCRATCH_EN: 0
; COMPUTE_PGM_RSRC2:USER_SGPR: 6
; COMPUTE_PGM_RSRC2:TRAP_HANDLER: 0
; COMPUTE_PGM_RSRC2:TGID_X_EN: 1
; COMPUTE_PGM_RSRC2:TGID_Y_EN: 1
; COMPUTE_PGM_RSRC2:TGID_Z_EN: 0
; COMPUTE_PGM_RSRC2:TIDIG_COMP_CNT: 1
	.section	.text._Z10matrix_mulIfEvPT_S1_S1_iiiS0_S0_,"axG",@progbits,_Z10matrix_mulIfEvPT_S1_S1_iiiS0_S0_,comdat
	.protected	_Z10matrix_mulIfEvPT_S1_S1_iiiS0_S0_ ; -- Begin function _Z10matrix_mulIfEvPT_S1_S1_iiiS0_S0_
	.globl	_Z10matrix_mulIfEvPT_S1_S1_iiiS0_S0_
	.p2align	8
	.type	_Z10matrix_mulIfEvPT_S1_S1_iiiS0_S0_,@function
_Z10matrix_mulIfEvPT_S1_S1_iiiS0_S0_:   ; @_Z10matrix_mulIfEvPT_S1_S1_iiiS0_S0_
; %bb.0:
	s_load_dwordx4 s[8:11], s[4:5], 0x18
	v_lshl_add_u32 v5, s7, 4, v1
	v_lshl_add_u32 v0, s6, 4, v0
	s_waitcnt lgkmcnt(0)
	v_cmp_gt_i32_e32 vcc, s8, v5
	v_cmp_gt_i32_e64 s[0:1], s10, v0
	s_and_b64 s[0:1], vcc, s[0:1]
	s_and_saveexec_b64 s[2:3], s[0:1]
	s_cbranch_execz .LBB1_6
; %bb.1:
	s_load_dword s8, s[4:5], 0x28
	s_load_dwordx4 s[0:3], s[4:5], 0x0
	s_load_dwordx2 s[6:7], s[4:5], 0x10
	s_cmp_lt_i32 s9, 1
	s_cbranch_scc1 .LBB1_4
; %bb.2:
	v_mul_lo_u32 v1, s9, v5
	s_waitcnt lgkmcnt(0)
	v_mov_b32_e32 v3, s1
	v_mov_b32_e32 v6, 0
	;; [unrolled: 1-line block ×3, first 2 shown]
	v_ashrrev_i32_e32 v2, 31, v1
	v_lshlrev_b64 v[1:2], 2, v[1:2]
	v_add_co_u32_e32 v1, vcc, s0, v1
	v_addc_co_u32_e32 v2, vcc, v3, v2, vcc
	v_mov_b32_e32 v3, v0
.LBB1_3:                                ; =>This Inner Loop Header: Depth=1
	v_ashrrev_i32_e32 v4, 31, v3
	v_lshlrev_b64 v[8:9], 2, v[3:4]
	global_load_dword v10, v[1:2], off
	v_add_co_u32_e32 v8, vcc, s2, v8
	v_addc_co_u32_e32 v9, vcc, v7, v9, vcc
	global_load_dword v4, v[8:9], off
	s_add_i32 s9, s9, -1
	v_add_co_u32_e32 v1, vcc, 4, v1
	v_addc_co_u32_e32 v2, vcc, 0, v2, vcc
	v_add_u32_e32 v3, s10, v3
	s_cmp_eq_u32 s9, 0
	s_waitcnt vmcnt(0)
	v_fmac_f32_e32 v6, v10, v4
	s_cbranch_scc0 .LBB1_3
	s_branch .LBB1_5
.LBB1_4:
	v_mov_b32_e32 v6, 0
.LBB1_5:
	s_waitcnt lgkmcnt(0)
	v_mad_u64_u32 v[0:1], s[0:1], s10, v5, v[0:1]
	v_mov_b32_e32 v2, s7
	v_ashrrev_i32_e32 v1, 31, v0
	v_lshlrev_b64 v[0:1], 2, v[0:1]
	v_add_co_u32_e32 v0, vcc, s6, v0
	v_addc_co_u32_e32 v1, vcc, v2, v1, vcc
	global_load_dword v2, v[0:1], off
	s_waitcnt vmcnt(0)
	v_mul_f32_e32 v2, s8, v2
	v_fmac_f32_e32 v2, s11, v6
	global_store_dword v[0:1], v2, off
.LBB1_6:
	s_endpgm
	.section	.rodata,"a",@progbits
	.p2align	6, 0x0
	.amdhsa_kernel _Z10matrix_mulIfEvPT_S1_S1_iiiS0_S0_
		.amdhsa_group_segment_fixed_size 0
		.amdhsa_private_segment_fixed_size 0
		.amdhsa_kernarg_size 44
		.amdhsa_user_sgpr_count 6
		.amdhsa_user_sgpr_private_segment_buffer 1
		.amdhsa_user_sgpr_dispatch_ptr 0
		.amdhsa_user_sgpr_queue_ptr 0
		.amdhsa_user_sgpr_kernarg_segment_ptr 1
		.amdhsa_user_sgpr_dispatch_id 0
		.amdhsa_user_sgpr_flat_scratch_init 0
		.amdhsa_user_sgpr_private_segment_size 0
		.amdhsa_uses_dynamic_stack 0
		.amdhsa_system_sgpr_private_segment_wavefront_offset 0
		.amdhsa_system_sgpr_workgroup_id_x 1
		.amdhsa_system_sgpr_workgroup_id_y 1
		.amdhsa_system_sgpr_workgroup_id_z 0
		.amdhsa_system_sgpr_workgroup_info 0
		.amdhsa_system_vgpr_workitem_id 1
		.amdhsa_next_free_vgpr 11
		.amdhsa_next_free_sgpr 12
		.amdhsa_reserve_vcc 1
		.amdhsa_reserve_flat_scratch 0
		.amdhsa_float_round_mode_32 0
		.amdhsa_float_round_mode_16_64 0
		.amdhsa_float_denorm_mode_32 3
		.amdhsa_float_denorm_mode_16_64 3
		.amdhsa_dx10_clamp 1
		.amdhsa_ieee_mode 1
		.amdhsa_fp16_overflow 0
		.amdhsa_exception_fp_ieee_invalid_op 0
		.amdhsa_exception_fp_denorm_src 0
		.amdhsa_exception_fp_ieee_div_zero 0
		.amdhsa_exception_fp_ieee_overflow 0
		.amdhsa_exception_fp_ieee_underflow 0
		.amdhsa_exception_fp_ieee_inexact 0
		.amdhsa_exception_int_div_zero 0
	.end_amdhsa_kernel
	.section	.text._Z10matrix_mulIfEvPT_S1_S1_iiiS0_S0_,"axG",@progbits,_Z10matrix_mulIfEvPT_S1_S1_iiiS0_S0_,comdat
.Lfunc_end1:
	.size	_Z10matrix_mulIfEvPT_S1_S1_iiiS0_S0_, .Lfunc_end1-_Z10matrix_mulIfEvPT_S1_S1_iiiS0_S0_
                                        ; -- End function
	.set _Z10matrix_mulIfEvPT_S1_S1_iiiS0_S0_.num_vgpr, 11
	.set _Z10matrix_mulIfEvPT_S1_S1_iiiS0_S0_.num_agpr, 0
	.set _Z10matrix_mulIfEvPT_S1_S1_iiiS0_S0_.numbered_sgpr, 12
	.set _Z10matrix_mulIfEvPT_S1_S1_iiiS0_S0_.num_named_barrier, 0
	.set _Z10matrix_mulIfEvPT_S1_S1_iiiS0_S0_.private_seg_size, 0
	.set _Z10matrix_mulIfEvPT_S1_S1_iiiS0_S0_.uses_vcc, 1
	.set _Z10matrix_mulIfEvPT_S1_S1_iiiS0_S0_.uses_flat_scratch, 0
	.set _Z10matrix_mulIfEvPT_S1_S1_iiiS0_S0_.has_dyn_sized_stack, 0
	.set _Z10matrix_mulIfEvPT_S1_S1_iiiS0_S0_.has_recursion, 0
	.set _Z10matrix_mulIfEvPT_S1_S1_iiiS0_S0_.has_indirect_call, 0
	.section	.AMDGPU.csdata,"",@progbits
; Kernel info:
; codeLenInByte = 276
; TotalNumSgprs: 16
; NumVgprs: 11
; ScratchSize: 0
; MemoryBound: 0
; FloatMode: 240
; IeeeMode: 1
; LDSByteSize: 0 bytes/workgroup (compile time only)
; SGPRBlocks: 1
; VGPRBlocks: 2
; NumSGPRsForWavesPerEU: 16
; NumVGPRsForWavesPerEU: 11
; Occupancy: 10
; WaveLimiterHint : 0
; COMPUTE_PGM_RSRC2:SCRATCH_EN: 0
; COMPUTE_PGM_RSRC2:USER_SGPR: 6
; COMPUTE_PGM_RSRC2:TRAP_HANDLER: 0
; COMPUTE_PGM_RSRC2:TGID_X_EN: 1
; COMPUTE_PGM_RSRC2:TGID_Y_EN: 1
; COMPUTE_PGM_RSRC2:TGID_Z_EN: 0
; COMPUTE_PGM_RSRC2:TIDIG_COMP_CNT: 1
	.section	.text._Z10matrix_mulIdEvPT_S1_S1_iiiS0_S0_,"axG",@progbits,_Z10matrix_mulIdEvPT_S1_S1_iiiS0_S0_,comdat
	.protected	_Z10matrix_mulIdEvPT_S1_S1_iiiS0_S0_ ; -- Begin function _Z10matrix_mulIdEvPT_S1_S1_iiiS0_S0_
	.globl	_Z10matrix_mulIdEvPT_S1_S1_iiiS0_S0_
	.p2align	8
	.type	_Z10matrix_mulIdEvPT_S1_S1_iiiS0_S0_,@function
_Z10matrix_mulIdEvPT_S1_S1_iiiS0_S0_:   ; @_Z10matrix_mulIdEvPT_S1_S1_iiiS0_S0_
; %bb.0:
	s_load_dwordx4 s[8:11], s[4:5], 0x18
	v_lshl_add_u32 v7, s7, 4, v1
	v_lshl_add_u32 v0, s6, 4, v0
	s_waitcnt lgkmcnt(0)
	v_cmp_gt_i32_e32 vcc, s8, v7
	v_cmp_gt_i32_e64 s[0:1], s10, v0
	s_and_b64 s[0:1], vcc, s[0:1]
	s_and_saveexec_b64 s[2:3], s[0:1]
	s_cbranch_execz .LBB2_6
; %bb.1:
	s_load_dwordx4 s[0:3], s[4:5], 0x0
	s_load_dwordx2 s[6:7], s[4:5], 0x10
	s_cmp_lt_i32 s9, 1
	s_cbranch_scc1 .LBB2_4
; %bb.2:
	v_mul_lo_u32 v1, s9, v7
	s_waitcnt lgkmcnt(0)
	v_mov_b32_e32 v4, s1
	v_mov_b32_e32 v8, s3
	;; [unrolled: 1-line block ×3, first 2 shown]
	v_ashrrev_i32_e32 v2, 31, v1
	v_lshlrev_b64 v[1:2], 3, v[1:2]
	v_add_co_u32_e32 v3, vcc, s0, v1
	v_addc_co_u32_e32 v4, vcc, v4, v2, vcc
	v_mov_b32_e32 v1, 0
	v_mov_b32_e32 v2, 0
.LBB2_3:                                ; =>This Inner Loop Header: Depth=1
	v_ashrrev_i32_e32 v6, 31, v5
	v_lshlrev_b64 v[11:12], 3, v[5:6]
	global_load_dwordx2 v[9:10], v[3:4], off
	v_add_co_u32_e32 v11, vcc, s2, v11
	v_addc_co_u32_e32 v12, vcc, v8, v12, vcc
	global_load_dwordx2 v[11:12], v[11:12], off
	s_add_i32 s9, s9, -1
	v_add_co_u32_e32 v3, vcc, 8, v3
	v_addc_co_u32_e32 v4, vcc, 0, v4, vcc
	s_cmp_eq_u32 s9, 0
	v_add_u32_e32 v5, s10, v5
	s_waitcnt vmcnt(0)
	v_fma_f64 v[1:2], v[9:10], v[11:12], v[1:2]
	s_cbranch_scc0 .LBB2_3
	s_branch .LBB2_5
.LBB2_4:
	v_mov_b32_e32 v1, 0
	v_mov_b32_e32 v2, 0
.LBB2_5:
	s_waitcnt lgkmcnt(0)
	v_mad_u64_u32 v[3:4], s[0:1], s10, v7, v[0:1]
	v_mov_b32_e32 v0, s7
	s_load_dwordx4 s[0:3], s[4:5], 0x28
	v_ashrrev_i32_e32 v4, 31, v3
	v_lshlrev_b64 v[3:4], 3, v[3:4]
	v_add_co_u32_e32 v3, vcc, s6, v3
	v_addc_co_u32_e32 v4, vcc, v0, v4, vcc
	global_load_dwordx2 v[5:6], v[3:4], off
	s_waitcnt vmcnt(0) lgkmcnt(0)
	v_mul_f64 v[5:6], s[2:3], v[5:6]
	v_fma_f64 v[0:1], s[0:1], v[1:2], v[5:6]
	global_store_dwordx2 v[3:4], v[0:1], off
.LBB2_6:
	s_endpgm
	.section	.rodata,"a",@progbits
	.p2align	6, 0x0
	.amdhsa_kernel _Z10matrix_mulIdEvPT_S1_S1_iiiS0_S0_
		.amdhsa_group_segment_fixed_size 0
		.amdhsa_private_segment_fixed_size 0
		.amdhsa_kernarg_size 56
		.amdhsa_user_sgpr_count 6
		.amdhsa_user_sgpr_private_segment_buffer 1
		.amdhsa_user_sgpr_dispatch_ptr 0
		.amdhsa_user_sgpr_queue_ptr 0
		.amdhsa_user_sgpr_kernarg_segment_ptr 1
		.amdhsa_user_sgpr_dispatch_id 0
		.amdhsa_user_sgpr_flat_scratch_init 0
		.amdhsa_user_sgpr_private_segment_size 0
		.amdhsa_uses_dynamic_stack 0
		.amdhsa_system_sgpr_private_segment_wavefront_offset 0
		.amdhsa_system_sgpr_workgroup_id_x 1
		.amdhsa_system_sgpr_workgroup_id_y 1
		.amdhsa_system_sgpr_workgroup_id_z 0
		.amdhsa_system_sgpr_workgroup_info 0
		.amdhsa_system_vgpr_workitem_id 1
		.amdhsa_next_free_vgpr 13
		.amdhsa_next_free_sgpr 12
		.amdhsa_reserve_vcc 1
		.amdhsa_reserve_flat_scratch 0
		.amdhsa_float_round_mode_32 0
		.amdhsa_float_round_mode_16_64 0
		.amdhsa_float_denorm_mode_32 3
		.amdhsa_float_denorm_mode_16_64 3
		.amdhsa_dx10_clamp 1
		.amdhsa_ieee_mode 1
		.amdhsa_fp16_overflow 0
		.amdhsa_exception_fp_ieee_invalid_op 0
		.amdhsa_exception_fp_denorm_src 0
		.amdhsa_exception_fp_ieee_div_zero 0
		.amdhsa_exception_fp_ieee_overflow 0
		.amdhsa_exception_fp_ieee_underflow 0
		.amdhsa_exception_fp_ieee_inexact 0
		.amdhsa_exception_int_div_zero 0
	.end_amdhsa_kernel
	.section	.text._Z10matrix_mulIdEvPT_S1_S1_iiiS0_S0_,"axG",@progbits,_Z10matrix_mulIdEvPT_S1_S1_iiiS0_S0_,comdat
.Lfunc_end2:
	.size	_Z10matrix_mulIdEvPT_S1_S1_iiiS0_S0_, .Lfunc_end2-_Z10matrix_mulIdEvPT_S1_S1_iiiS0_S0_
                                        ; -- End function
	.set _Z10matrix_mulIdEvPT_S1_S1_iiiS0_S0_.num_vgpr, 13
	.set _Z10matrix_mulIdEvPT_S1_S1_iiiS0_S0_.num_agpr, 0
	.set _Z10matrix_mulIdEvPT_S1_S1_iiiS0_S0_.numbered_sgpr, 12
	.set _Z10matrix_mulIdEvPT_S1_S1_iiiS0_S0_.num_named_barrier, 0
	.set _Z10matrix_mulIdEvPT_S1_S1_iiiS0_S0_.private_seg_size, 0
	.set _Z10matrix_mulIdEvPT_S1_S1_iiiS0_S0_.uses_vcc, 1
	.set _Z10matrix_mulIdEvPT_S1_S1_iiiS0_S0_.uses_flat_scratch, 0
	.set _Z10matrix_mulIdEvPT_S1_S1_iiiS0_S0_.has_dyn_sized_stack, 0
	.set _Z10matrix_mulIdEvPT_S1_S1_iiiS0_S0_.has_recursion, 0
	.set _Z10matrix_mulIdEvPT_S1_S1_iiiS0_S0_.has_indirect_call, 0
	.section	.AMDGPU.csdata,"",@progbits
; Kernel info:
; codeLenInByte = 296
; TotalNumSgprs: 16
; NumVgprs: 13
; ScratchSize: 0
; MemoryBound: 0
; FloatMode: 240
; IeeeMode: 1
; LDSByteSize: 0 bytes/workgroup (compile time only)
; SGPRBlocks: 1
; VGPRBlocks: 3
; NumSGPRsForWavesPerEU: 16
; NumVGPRsForWavesPerEU: 13
; Occupancy: 10
; WaveLimiterHint : 0
; COMPUTE_PGM_RSRC2:SCRATCH_EN: 0
; COMPUTE_PGM_RSRC2:USER_SGPR: 6
; COMPUTE_PGM_RSRC2:TRAP_HANDLER: 0
; COMPUTE_PGM_RSRC2:TGID_X_EN: 1
; COMPUTE_PGM_RSRC2:TGID_Y_EN: 1
; COMPUTE_PGM_RSRC2:TGID_Z_EN: 0
; COMPUTE_PGM_RSRC2:TIDIG_COMP_CNT: 1
	.section	.AMDGPU.gpr_maximums,"",@progbits
	.set amdgpu.max_num_vgpr, 0
	.set amdgpu.max_num_agpr, 0
	.set amdgpu.max_num_sgpr, 0
	.section	.AMDGPU.csdata,"",@progbits
	.type	__hip_cuid_9de3e6f8a48db6e,@object ; @__hip_cuid_9de3e6f8a48db6e
	.section	.bss,"aw",@nobits
	.globl	__hip_cuid_9de3e6f8a48db6e
__hip_cuid_9de3e6f8a48db6e:
	.byte	0                               ; 0x0
	.size	__hip_cuid_9de3e6f8a48db6e, 1

	.ident	"AMD clang version 22.0.0git (https://github.com/RadeonOpenCompute/llvm-project roc-7.2.4 26084 f58b06dce1f9c15707c5f808fd002e18c2accf7e)"
	.section	".note.GNU-stack","",@progbits
	.addrsig
	.addrsig_sym __hip_cuid_9de3e6f8a48db6e
	.amdgpu_metadata
---
amdhsa.kernels:
  - .args:
      - .address_space:  global
        .offset:         0
        .size:           8
        .value_kind:     global_buffer
      - .address_space:  global
        .offset:         8
        .size:           8
        .value_kind:     global_buffer
      - .address_space:  global
        .offset:         16
        .size:           8
        .value_kind:     global_buffer
      - .offset:         24
        .size:           4
        .value_kind:     by_value
      - .offset:         28
        .size:           4
        .value_kind:     by_value
      - .offset:         32
        .size:           4
        .value_kind:     by_value
      - .offset:         36
        .size:           2
        .value_kind:     by_value
      - .offset:         38
        .size:           2
        .value_kind:     by_value
    .group_segment_fixed_size: 0
    .kernarg_segment_align: 8
    .kernarg_segment_size: 40
    .language:       OpenCL C
    .language_version:
      - 2
      - 0
    .max_flat_workgroup_size: 1024
    .name:           _Z10matrix_mulI6__halfEvPT_S2_S2_iiiS1_S1_
    .private_segment_fixed_size: 0
    .sgpr_count:     16
    .sgpr_spill_count: 0
    .symbol:         _Z10matrix_mulI6__halfEvPT_S2_S2_iiiS1_S1_.kd
    .uniform_work_group_size: 1
    .uses_dynamic_stack: false
    .vgpr_count:     12
    .vgpr_spill_count: 0
    .wavefront_size: 64
  - .args:
      - .address_space:  global
        .offset:         0
        .size:           8
        .value_kind:     global_buffer
      - .address_space:  global
        .offset:         8
        .size:           8
        .value_kind:     global_buffer
      - .address_space:  global
        .offset:         16
        .size:           8
        .value_kind:     global_buffer
      - .offset:         24
        .size:           4
        .value_kind:     by_value
      - .offset:         28
        .size:           4
        .value_kind:     by_value
      - .offset:         32
        .size:           4
        .value_kind:     by_value
      - .offset:         36
        .size:           4
        .value_kind:     by_value
      - .offset:         40
        .size:           4
        .value_kind:     by_value
    .group_segment_fixed_size: 0
    .kernarg_segment_align: 8
    .kernarg_segment_size: 44
    .language:       OpenCL C
    .language_version:
      - 2
      - 0
    .max_flat_workgroup_size: 1024
    .name:           _Z10matrix_mulIfEvPT_S1_S1_iiiS0_S0_
    .private_segment_fixed_size: 0
    .sgpr_count:     16
    .sgpr_spill_count: 0
    .symbol:         _Z10matrix_mulIfEvPT_S1_S1_iiiS0_S0_.kd
    .uniform_work_group_size: 1
    .uses_dynamic_stack: false
    .vgpr_count:     11
    .vgpr_spill_count: 0
    .wavefront_size: 64
  - .args:
      - .address_space:  global
        .offset:         0
        .size:           8
        .value_kind:     global_buffer
      - .address_space:  global
        .offset:         8
        .size:           8
        .value_kind:     global_buffer
      - .address_space:  global
        .offset:         16
        .size:           8
        .value_kind:     global_buffer
      - .offset:         24
        .size:           4
        .value_kind:     by_value
      - .offset:         28
        .size:           4
        .value_kind:     by_value
      - .offset:         32
        .size:           4
        .value_kind:     by_value
      - .offset:         40
        .size:           8
        .value_kind:     by_value
      - .offset:         48
        .size:           8
        .value_kind:     by_value
    .group_segment_fixed_size: 0
    .kernarg_segment_align: 8
    .kernarg_segment_size: 56
    .language:       OpenCL C
    .language_version:
      - 2
      - 0
    .max_flat_workgroup_size: 1024
    .name:           _Z10matrix_mulIdEvPT_S1_S1_iiiS0_S0_
    .private_segment_fixed_size: 0
    .sgpr_count:     16
    .sgpr_spill_count: 0
    .symbol:         _Z10matrix_mulIdEvPT_S1_S1_iiiS0_S0_.kd
    .uniform_work_group_size: 1
    .uses_dynamic_stack: false
    .vgpr_count:     13
    .vgpr_spill_count: 0
    .wavefront_size: 64
amdhsa.target:   amdgcn-amd-amdhsa--gfx906
amdhsa.version:
  - 1
  - 2
...

	.end_amdgpu_metadata
